;; amdgpu-corpus repo=llvm/llvm-project kind=harvested arch=n/a opt=n/a
// NOTE: Assertions have been autogenerated by utils/update_mc_test_checks.py UTC_ARGS: --version 5
// RUN: not llvm-mc -triple=amdgcn -mcpu=gfx1170 -show-encoding %s 2>&1 | FileCheck --check-prefix=GFX1170 --strict-whitespace --implicit-check-not=error %s

v_cvt_sr_bf8_f32 v1, v2, v3 byte_sel:4
// GFX1170: :[[@LINE-1]]:29: error: invalid byte_sel value.
